;; amdgpu-corpus repo=ROCm/rocFFT kind=compiled arch=gfx1201 opt=O3
	.text
	.amdgcn_target "amdgcn-amd-amdhsa--gfx1201"
	.amdhsa_code_object_version 6
	.protected	fft_rtc_fwd_len78_factors_6_13_wgs_247_tpt_13_dp_ip_CI_unitstride_sbrr_R2C_dirReg ; -- Begin function fft_rtc_fwd_len78_factors_6_13_wgs_247_tpt_13_dp_ip_CI_unitstride_sbrr_R2C_dirReg
	.globl	fft_rtc_fwd_len78_factors_6_13_wgs_247_tpt_13_dp_ip_CI_unitstride_sbrr_R2C_dirReg
	.p2align	8
	.type	fft_rtc_fwd_len78_factors_6_13_wgs_247_tpt_13_dp_ip_CI_unitstride_sbrr_R2C_dirReg,@function
fft_rtc_fwd_len78_factors_6_13_wgs_247_tpt_13_dp_ip_CI_unitstride_sbrr_R2C_dirReg: ; @fft_rtc_fwd_len78_factors_6_13_wgs_247_tpt_13_dp_ip_CI_unitstride_sbrr_R2C_dirReg
; %bb.0:
	s_load_b128 s[4:7], s[0:1], 0x0
	v_mul_u32_u24_e32 v1, 0x13b2, v0
	s_clause 0x1
	s_load_b64 s[8:9], s[0:1], 0x50
	s_load_b64 s[10:11], s[0:1], 0x18
	v_mov_b32_e32 v5, 0
	v_lshrrev_b32_e32 v1, 16, v1
	s_delay_alu instid0(VALU_DEP_1) | instskip(SKIP_3) | instid1(VALU_DEP_1)
	v_mad_co_u64_u32 v[1:2], null, ttmp9, 19, v[1:2]
	v_mov_b32_e32 v3, 0
	v_mov_b32_e32 v4, 0
	;; [unrolled: 1-line block ×4, first 2 shown]
	s_wait_kmcnt 0x0
	v_cmp_lt_u64_e64 s2, s[6:7], 2
	v_mov_b32_e32 v9, v1
	s_delay_alu instid0(VALU_DEP_2)
	s_and_b32 vcc_lo, exec_lo, s2
	s_cbranch_vccnz .LBB0_8
; %bb.1:
	s_load_b64 s[2:3], s[0:1], 0x10
	v_dual_mov_b32 v3, 0 :: v_dual_mov_b32 v8, v2
	v_dual_mov_b32 v4, 0 :: v_dual_mov_b32 v7, v1
	s_add_nc_u64 s[12:13], s[10:11], 8
	s_mov_b64 s[14:15], 1
	s_wait_kmcnt 0x0
	s_add_nc_u64 s[16:17], s[2:3], 8
	s_mov_b32 s3, 0
.LBB0_2:                                ; =>This Inner Loop Header: Depth=1
	s_load_b64 s[18:19], s[16:17], 0x0
                                        ; implicit-def: $vgpr9_vgpr10
	s_mov_b32 s2, exec_lo
	s_wait_kmcnt 0x0
	v_or_b32_e32 v6, s19, v8
	s_delay_alu instid0(VALU_DEP_1)
	v_cmpx_ne_u64_e32 0, v[5:6]
	s_wait_alu 0xfffe
	s_xor_b32 s20, exec_lo, s2
	s_cbranch_execz .LBB0_4
; %bb.3:                                ;   in Loop: Header=BB0_2 Depth=1
	s_cvt_f32_u32 s2, s18
	s_cvt_f32_u32 s21, s19
	s_sub_nc_u64 s[24:25], 0, s[18:19]
	s_wait_alu 0xfffe
	s_delay_alu instid0(SALU_CYCLE_1) | instskip(SKIP_1) | instid1(SALU_CYCLE_2)
	s_fmamk_f32 s2, s21, 0x4f800000, s2
	s_wait_alu 0xfffe
	v_s_rcp_f32 s2, s2
	s_delay_alu instid0(TRANS32_DEP_1) | instskip(SKIP_1) | instid1(SALU_CYCLE_2)
	s_mul_f32 s2, s2, 0x5f7ffffc
	s_wait_alu 0xfffe
	s_mul_f32 s21, s2, 0x2f800000
	s_wait_alu 0xfffe
	s_delay_alu instid0(SALU_CYCLE_2) | instskip(SKIP_1) | instid1(SALU_CYCLE_2)
	s_trunc_f32 s21, s21
	s_wait_alu 0xfffe
	s_fmamk_f32 s2, s21, 0xcf800000, s2
	s_cvt_u32_f32 s23, s21
	s_wait_alu 0xfffe
	s_delay_alu instid0(SALU_CYCLE_1) | instskip(SKIP_1) | instid1(SALU_CYCLE_2)
	s_cvt_u32_f32 s22, s2
	s_wait_alu 0xfffe
	s_mul_u64 s[26:27], s[24:25], s[22:23]
	s_wait_alu 0xfffe
	s_mul_hi_u32 s29, s22, s27
	s_mul_i32 s28, s22, s27
	s_mul_hi_u32 s2, s22, s26
	s_mul_i32 s30, s23, s26
	s_wait_alu 0xfffe
	s_add_nc_u64 s[28:29], s[2:3], s[28:29]
	s_mul_hi_u32 s21, s23, s26
	s_mul_hi_u32 s31, s23, s27
	s_add_co_u32 s2, s28, s30
	s_wait_alu 0xfffe
	s_add_co_ci_u32 s2, s29, s21
	s_mul_i32 s26, s23, s27
	s_add_co_ci_u32 s27, s31, 0
	s_wait_alu 0xfffe
	s_add_nc_u64 s[26:27], s[2:3], s[26:27]
	s_wait_alu 0xfffe
	v_add_co_u32 v2, s2, s22, s26
	s_delay_alu instid0(VALU_DEP_1) | instskip(SKIP_1) | instid1(VALU_DEP_1)
	s_cmp_lg_u32 s2, 0
	s_add_co_ci_u32 s23, s23, s27
	v_readfirstlane_b32 s22, v2
	s_wait_alu 0xfffe
	s_delay_alu instid0(VALU_DEP_1)
	s_mul_u64 s[24:25], s[24:25], s[22:23]
	s_wait_alu 0xfffe
	s_mul_hi_u32 s27, s22, s25
	s_mul_i32 s26, s22, s25
	s_mul_hi_u32 s2, s22, s24
	s_mul_i32 s28, s23, s24
	s_wait_alu 0xfffe
	s_add_nc_u64 s[26:27], s[2:3], s[26:27]
	s_mul_hi_u32 s21, s23, s24
	s_mul_hi_u32 s22, s23, s25
	s_wait_alu 0xfffe
	s_add_co_u32 s2, s26, s28
	s_add_co_ci_u32 s2, s27, s21
	s_mul_i32 s24, s23, s25
	s_add_co_ci_u32 s25, s22, 0
	s_wait_alu 0xfffe
	s_add_nc_u64 s[24:25], s[2:3], s[24:25]
	s_wait_alu 0xfffe
	v_add_co_u32 v2, s2, v2, s24
	s_delay_alu instid0(VALU_DEP_1) | instskip(SKIP_1) | instid1(VALU_DEP_1)
	s_cmp_lg_u32 s2, 0
	s_add_co_ci_u32 s2, s23, s25
	v_mul_hi_u32 v6, v7, v2
	s_wait_alu 0xfffe
	v_mad_co_u64_u32 v[9:10], null, v7, s2, 0
	v_mad_co_u64_u32 v[11:12], null, v8, v2, 0
	;; [unrolled: 1-line block ×3, first 2 shown]
	s_delay_alu instid0(VALU_DEP_3) | instskip(SKIP_1) | instid1(VALU_DEP_4)
	v_add_co_u32 v2, vcc_lo, v6, v9
	s_wait_alu 0xfffd
	v_add_co_ci_u32_e32 v6, vcc_lo, 0, v10, vcc_lo
	s_delay_alu instid0(VALU_DEP_2) | instskip(SKIP_1) | instid1(VALU_DEP_2)
	v_add_co_u32 v2, vcc_lo, v2, v11
	s_wait_alu 0xfffd
	v_add_co_ci_u32_e32 v2, vcc_lo, v6, v12, vcc_lo
	s_wait_alu 0xfffd
	v_add_co_ci_u32_e32 v6, vcc_lo, 0, v14, vcc_lo
	s_delay_alu instid0(VALU_DEP_2) | instskip(SKIP_1) | instid1(VALU_DEP_2)
	v_add_co_u32 v2, vcc_lo, v2, v13
	s_wait_alu 0xfffd
	v_add_co_ci_u32_e32 v6, vcc_lo, 0, v6, vcc_lo
	s_delay_alu instid0(VALU_DEP_2) | instskip(SKIP_1) | instid1(VALU_DEP_3)
	v_mul_lo_u32 v11, s19, v2
	v_mad_co_u64_u32 v[9:10], null, s18, v2, 0
	v_mul_lo_u32 v12, s18, v6
	s_delay_alu instid0(VALU_DEP_2) | instskip(NEXT) | instid1(VALU_DEP_2)
	v_sub_co_u32 v9, vcc_lo, v7, v9
	v_add3_u32 v10, v10, v12, v11
	s_delay_alu instid0(VALU_DEP_1) | instskip(SKIP_1) | instid1(VALU_DEP_1)
	v_sub_nc_u32_e32 v11, v8, v10
	s_wait_alu 0xfffd
	v_subrev_co_ci_u32_e64 v11, s2, s19, v11, vcc_lo
	v_add_co_u32 v12, s2, v2, 2
	s_wait_alu 0xf1ff
	v_add_co_ci_u32_e64 v13, s2, 0, v6, s2
	v_sub_co_u32 v14, s2, v9, s18
	v_sub_co_ci_u32_e32 v10, vcc_lo, v8, v10, vcc_lo
	s_wait_alu 0xf1ff
	v_subrev_co_ci_u32_e64 v11, s2, 0, v11, s2
	s_delay_alu instid0(VALU_DEP_3) | instskip(NEXT) | instid1(VALU_DEP_3)
	v_cmp_le_u32_e32 vcc_lo, s18, v14
	v_cmp_eq_u32_e64 s2, s19, v10
	s_wait_alu 0xfffd
	v_cndmask_b32_e64 v14, 0, -1, vcc_lo
	v_cmp_le_u32_e32 vcc_lo, s19, v11
	s_wait_alu 0xfffd
	v_cndmask_b32_e64 v15, 0, -1, vcc_lo
	v_cmp_le_u32_e32 vcc_lo, s18, v9
	;; [unrolled: 3-line block ×3, first 2 shown]
	s_wait_alu 0xfffd
	v_cndmask_b32_e64 v16, 0, -1, vcc_lo
	v_cmp_eq_u32_e32 vcc_lo, s19, v11
	s_wait_alu 0xf1ff
	s_delay_alu instid0(VALU_DEP_2)
	v_cndmask_b32_e64 v9, v16, v9, s2
	s_wait_alu 0xfffd
	v_cndmask_b32_e32 v11, v15, v14, vcc_lo
	v_add_co_u32 v14, vcc_lo, v2, 1
	s_wait_alu 0xfffd
	v_add_co_ci_u32_e32 v15, vcc_lo, 0, v6, vcc_lo
	s_delay_alu instid0(VALU_DEP_3) | instskip(SKIP_1) | instid1(VALU_DEP_2)
	v_cmp_ne_u32_e32 vcc_lo, 0, v11
	s_wait_alu 0xfffd
	v_dual_cndmask_b32 v10, v15, v13 :: v_dual_cndmask_b32 v11, v14, v12
	v_cmp_ne_u32_e32 vcc_lo, 0, v9
	s_wait_alu 0xfffd
	s_delay_alu instid0(VALU_DEP_2) | instskip(NEXT) | instid1(VALU_DEP_3)
	v_cndmask_b32_e32 v10, v6, v10, vcc_lo
	v_cndmask_b32_e32 v9, v2, v11, vcc_lo
.LBB0_4:                                ;   in Loop: Header=BB0_2 Depth=1
	s_wait_alu 0xfffe
	s_and_not1_saveexec_b32 s2, s20
	s_cbranch_execz .LBB0_6
; %bb.5:                                ;   in Loop: Header=BB0_2 Depth=1
	v_cvt_f32_u32_e32 v2, s18
	s_sub_co_i32 s20, 0, s18
	s_delay_alu instid0(VALU_DEP_1) | instskip(NEXT) | instid1(TRANS32_DEP_1)
	v_rcp_iflag_f32_e32 v2, v2
	v_mul_f32_e32 v2, 0x4f7ffffe, v2
	s_delay_alu instid0(VALU_DEP_1) | instskip(SKIP_1) | instid1(VALU_DEP_1)
	v_cvt_u32_f32_e32 v2, v2
	s_wait_alu 0xfffe
	v_mul_lo_u32 v6, s20, v2
	s_delay_alu instid0(VALU_DEP_1) | instskip(NEXT) | instid1(VALU_DEP_1)
	v_mul_hi_u32 v6, v2, v6
	v_add_nc_u32_e32 v2, v2, v6
	s_delay_alu instid0(VALU_DEP_1) | instskip(NEXT) | instid1(VALU_DEP_1)
	v_mul_hi_u32 v2, v7, v2
	v_mul_lo_u32 v6, v2, s18
	v_add_nc_u32_e32 v9, 1, v2
	s_delay_alu instid0(VALU_DEP_2) | instskip(NEXT) | instid1(VALU_DEP_1)
	v_sub_nc_u32_e32 v6, v7, v6
	v_subrev_nc_u32_e32 v10, s18, v6
	v_cmp_le_u32_e32 vcc_lo, s18, v6
	s_wait_alu 0xfffd
	s_delay_alu instid0(VALU_DEP_2) | instskip(SKIP_2) | instid1(VALU_DEP_3)
	v_cndmask_b32_e32 v6, v6, v10, vcc_lo
	v_mov_b32_e32 v10, v5
	v_cndmask_b32_e32 v2, v2, v9, vcc_lo
	v_cmp_le_u32_e32 vcc_lo, s18, v6
	s_delay_alu instid0(VALU_DEP_2) | instskip(SKIP_1) | instid1(VALU_DEP_1)
	v_add_nc_u32_e32 v9, 1, v2
	s_wait_alu 0xfffd
	v_cndmask_b32_e32 v9, v2, v9, vcc_lo
.LBB0_6:                                ;   in Loop: Header=BB0_2 Depth=1
	s_wait_alu 0xfffe
	s_or_b32 exec_lo, exec_lo, s2
	s_load_b64 s[20:21], s[12:13], 0x0
	v_mul_lo_u32 v2, v10, s18
	v_mul_lo_u32 v6, v9, s19
	v_mad_co_u64_u32 v[11:12], null, v9, s18, 0
	s_add_nc_u64 s[14:15], s[14:15], 1
	s_add_nc_u64 s[12:13], s[12:13], 8
	s_wait_alu 0xfffe
	v_cmp_ge_u64_e64 s2, s[14:15], s[6:7]
	s_add_nc_u64 s[16:17], s[16:17], 8
	s_delay_alu instid0(VALU_DEP_2) | instskip(NEXT) | instid1(VALU_DEP_3)
	v_add3_u32 v2, v12, v6, v2
	v_sub_co_u32 v6, vcc_lo, v7, v11
	s_wait_alu 0xfffd
	s_delay_alu instid0(VALU_DEP_2) | instskip(SKIP_3) | instid1(VALU_DEP_2)
	v_sub_co_ci_u32_e32 v2, vcc_lo, v8, v2, vcc_lo
	s_and_b32 vcc_lo, exec_lo, s2
	s_wait_kmcnt 0x0
	v_mul_lo_u32 v7, s21, v6
	v_mul_lo_u32 v2, s20, v2
	v_mad_co_u64_u32 v[3:4], null, s20, v6, v[3:4]
	s_delay_alu instid0(VALU_DEP_1)
	v_add3_u32 v4, v7, v4, v2
	s_wait_alu 0xfffe
	s_cbranch_vccnz .LBB0_8
; %bb.7:                                ;   in Loop: Header=BB0_2 Depth=1
	v_dual_mov_b32 v7, v9 :: v_dual_mov_b32 v8, v10
	s_branch .LBB0_2
.LBB0_8:
	v_mul_hi_u32 v2, 0xaf286bcb, v1
	s_lshl_b64 s[2:3], s[6:7], 3
	s_load_b64 s[0:1], s[0:1], 0x20
	s_add_nc_u64 s[2:3], s[10:11], s[2:3]
	s_load_b64 s[2:3], s[2:3], 0x0
	s_delay_alu instid0(VALU_DEP_1) | instskip(NEXT) | instid1(VALU_DEP_1)
	v_sub_nc_u32_e32 v5, v1, v2
	v_lshrrev_b32_e32 v5, 1, v5
	s_delay_alu instid0(VALU_DEP_1) | instskip(SKIP_3) | instid1(VALU_DEP_3)
	v_add_nc_u32_e32 v2, v5, v2
	v_mul_hi_u32 v5, 0x13b13b14, v0
	s_wait_kmcnt 0x0
	v_cmp_gt_u64_e32 vcc_lo, s[0:1], v[9:10]
	v_lshrrev_b32_e32 v2, 4, v2
	v_mul_lo_u32 v7, s2, v10
	v_mul_lo_u32 v8, s3, v9
	s_delay_alu instid0(VALU_DEP_3) | instskip(SKIP_2) | instid1(VALU_DEP_1)
	v_mul_lo_u32 v6, v2, 19
	v_mad_co_u64_u32 v[2:3], null, s2, v9, v[3:4]
	v_mul_u32_u24_e32 v4, 13, v5
	v_sub_nc_u32_e32 v60, v0, v4
	s_delay_alu instid0(VALU_DEP_4) | instskip(NEXT) | instid1(VALU_DEP_4)
	v_sub_nc_u32_e32 v1, v1, v6
	v_add3_u32 v3, v8, v3, v7
	s_delay_alu instid0(VALU_DEP_3) | instskip(NEXT) | instid1(VALU_DEP_3)
	v_lshlrev_b32_e32 v81, 4, v60
	v_mul_u32_u24_e32 v1, 0x4f, v1
	s_delay_alu instid0(VALU_DEP_3) | instskip(NEXT) | instid1(VALU_DEP_2)
	v_lshlrev_b64_e32 v[62:63], 4, v[2:3]
	v_lshlrev_b32_e32 v0, 4, v1
	s_and_saveexec_b32 s1, vcc_lo
	s_cbranch_execz .LBB0_10
; %bb.9:
	v_mov_b32_e32 v61, 0
	s_delay_alu instid0(VALU_DEP_3) | instskip(SKIP_2) | instid1(VALU_DEP_3)
	v_add_co_u32 v3, s0, s8, v62
	s_wait_alu 0xf1ff
	v_add_co_ci_u32_e64 v4, s0, s9, v63, s0
	v_lshlrev_b64_e32 v[1:2], 4, v[60:61]
	v_add3_u32 v25, 0, v0, v81
	s_delay_alu instid0(VALU_DEP_2) | instskip(SKIP_1) | instid1(VALU_DEP_3)
	v_add_co_u32 v21, s0, v3, v1
	s_wait_alu 0xf1ff
	v_add_co_ci_u32_e64 v22, s0, v4, v2, s0
	s_clause 0x5
	global_load_b128 v[1:4], v[21:22], off
	global_load_b128 v[5:8], v[21:22], off offset:208
	global_load_b128 v[9:12], v[21:22], off offset:416
	;; [unrolled: 1-line block ×5, first 2 shown]
	s_wait_loadcnt 0x5
	ds_store_b128 v25, v[1:4]
	s_wait_loadcnt 0x4
	ds_store_b128 v25, v[5:8] offset:208
	s_wait_loadcnt 0x3
	ds_store_b128 v25, v[9:12] offset:416
	;; [unrolled: 2-line block ×5, first 2 shown]
.LBB0_10:
	s_wait_alu 0xfffe
	s_or_b32 exec_lo, exec_lo, s1
	v_add3_u32 v61, 0, v81, v0
	global_wb scope:SCOPE_SE
	s_wait_dscnt 0x0
	s_barrier_signal -1
	s_barrier_wait -1
	global_inv scope:SCOPE_SE
	ds_load_b128 v[1:4], v61 offset:624
	ds_load_b128 v[5:8], v61 offset:1040
	;; [unrolled: 1-line block ×3, first 2 shown]
	s_mov_b32 s0, 0xe8584caa
	s_mov_b32 s1, 0x3febb67a
	;; [unrolled: 1-line block ×3, first 2 shown]
	s_wait_alu 0xfffe
	s_mov_b32 s2, s0
	v_add_nc_u32_e32 v82, 0, v0
                                        ; implicit-def: $vgpr50_vgpr51
                                        ; implicit-def: $vgpr46_vgpr47
	s_delay_alu instid0(VALU_DEP_1)
	v_add_nc_u32_e32 v80, v82, v81
	s_wait_dscnt 0x1
	v_add_f64_e32 v[13:14], v[3:4], v[7:8]
	v_add_f64_e32 v[15:16], v[1:2], v[5:6]
	v_add_f64_e64 v[21:22], v[3:4], -v[7:8]
	v_add_f64_e64 v[23:24], v[1:2], -v[5:6]
	s_wait_dscnt 0x0
	v_add_f64_e32 v[0:1], v[9:10], v[1:2]
	v_add_f64_e32 v[2:3], v[11:12], v[3:4]
	v_fma_f64 v[25:26], v[13:14], -0.5, v[11:12]
	v_fma_f64 v[27:28], v[15:16], -0.5, v[9:10]
	ds_load_b128 v[13:16], v61 offset:416
	ds_load_b128 v[17:20], v61 offset:832
	v_add_f64_e32 v[4:5], v[0:1], v[5:6]
	v_add_f64_e32 v[6:7], v[2:3], v[7:8]
	s_wait_dscnt 0x0
	v_add_f64_e32 v[29:30], v[13:14], v[17:18]
	v_add_f64_e32 v[31:32], v[15:16], v[19:20]
	v_add_f64_e64 v[37:38], v[15:16], -v[19:20]
	v_add_f64_e64 v[11:12], v[13:14], -v[17:18]
	s_wait_alu 0xfffe
	v_fma_f64 v[33:34], v[23:24], s[2:3], v[25:26]
	v_fma_f64 v[35:36], v[21:22], s[2:3], v[27:28]
	;; [unrolled: 1-line block ×4, first 2 shown]
	ds_load_b128 v[21:24], v80
	global_wb scope:SCOPE_SE
	s_wait_dscnt 0x0
	s_barrier_signal -1
	s_barrier_wait -1
	global_inv scope:SCOPE_SE
	v_add_f64_e32 v[39:40], v[21:22], v[13:14]
	v_add_f64_e32 v[15:16], v[23:24], v[15:16]
	v_fma_f64 v[9:10], v[29:30], -0.5, v[21:22]
	v_fma_f64 v[13:14], v[31:32], -0.5, v[23:24]
	v_mul_f64_e32 v[21:22], s[0:1], v[33:34]
	v_mul_f64_e32 v[23:24], -0.5, v[35:36]
	v_mul_f64_e32 v[29:30], s[2:3], v[27:28]
	v_mul_f64_e32 v[31:32], -0.5, v[25:26]
	v_add_f64_e32 v[17:18], v[39:40], v[17:18]
	v_add_f64_e32 v[15:16], v[15:16], v[19:20]
	v_fma_f64 v[39:40], v[37:38], s[0:1], v[9:10]
	v_fma_f64 v[8:9], v[37:38], s[2:3], v[9:10]
	;; [unrolled: 1-line block ×4, first 2 shown]
	v_fma_f64 v[12:13], v[27:28], 0.5, v[21:22]
	v_fma_f64 v[41:42], v[25:26], s[0:1], v[23:24]
	v_fma_f64 v[43:44], v[33:34], 0.5, v[29:30]
	v_fma_f64 v[34:35], v[35:36], s[2:3], v[31:32]
	v_cmp_gt_u32_e64 s0, 6, v60
	v_add_f64_e32 v[0:1], v[17:18], v[4:5]
	v_add_f64_e32 v[2:3], v[15:16], v[6:7]
	v_add_f64_e64 v[20:21], v[17:18], -v[4:5]
	v_add_f64_e64 v[22:23], v[15:16], -v[6:7]
                                        ; implicit-def: $vgpr18_vgpr19
                                        ; implicit-def: $vgpr14_vgpr15
	v_add_f64_e32 v[24:25], v[39:40], v[12:13]
	v_add_f64_e32 v[4:5], v[8:9], v[41:42]
	;; [unrolled: 1-line block ×4, first 2 shown]
	v_add_f64_e64 v[28:29], v[39:40], -v[12:13]
	v_add_f64_e64 v[32:33], v[8:9], -v[41:42]
	v_add_f64_e64 v[30:31], v[37:38], -v[43:44]
	v_add_f64_e64 v[34:35], v[10:11], -v[34:35]
	v_mad_u32_u24 v8, 0x50, v60, v61
                                        ; implicit-def: $vgpr42_vgpr43
                                        ; implicit-def: $vgpr38_vgpr39
                                        ; implicit-def: $vgpr10_vgpr11
	ds_store_b128 v8, v[0:3]
	ds_store_b128 v8, v[24:27] offset:16
	ds_store_b128 v8, v[4:7] offset:32
	;; [unrolled: 1-line block ×5, first 2 shown]
	global_wb scope:SCOPE_SE
	s_wait_dscnt 0x0
	s_barrier_signal -1
	s_barrier_wait -1
	global_inv scope:SCOPE_SE
	s_and_saveexec_b32 s1, s0
	s_cbranch_execz .LBB0_12
; %bb.11:
	ds_load_b128 v[0:3], v80
	ds_load_b128 v[24:27], v61 offset:96
	ds_load_b128 v[4:7], v61 offset:192
	;; [unrolled: 1-line block ×12, first 2 shown]
.LBB0_12:
	s_wait_alu 0xfffe
	s_or_b32 exec_lo, exec_lo, s1
	global_wb scope:SCOPE_SE
	s_wait_dscnt 0x0
	s_barrier_signal -1
	s_barrier_wait -1
	global_inv scope:SCOPE_SE
	s_and_saveexec_b32 s33, s0
	s_cbranch_execz .LBB0_14
; %bb.13:
	v_and_b32_e32 v52, 0xff, v60
	s_mov_b32 s10, 0xebaa3ed8
	s_mov_b32 s6, 0xb2365da1
	;; [unrolled: 1-line block ×4, first 2 shown]
	v_mul_lo_u16 v52, 0xab, v52
	s_mov_b32 s0, 0x93053d00
	s_mov_b32 s36, 0xe00740e9
	s_mov_b32 s11, 0x3fbedb7d
	s_mov_b32 s7, 0xbfd6b1d8
	v_lshrrev_b16 v52, 10, v52
	s_mov_b32 s19, 0x3fe22d96
	s_mov_b32 s3, 0xbfe7f3cc
	;; [unrolled: 1-line block ×4, first 2 shown]
	v_mul_lo_u16 v52, v52, 6
	s_mov_b32 s38, 0x4267c47c
	s_mov_b32 s39, 0xbfddbe06
	;; [unrolled: 1-line block ×4, first 2 shown]
	v_sub_nc_u16 v52, v60, v52
	s_mov_b32 s26, 0x66966769
	s_mov_b32 s27, 0xbfefc445
	;; [unrolled: 1-line block ×4, first 2 shown]
	v_mul_lo_u16 v52, v52, 12
	s_mov_b32 s16, 0x24c2f84
	s_mov_b32 s14, 0x4bc48dbf
	;; [unrolled: 1-line block ×4, first 2 shown]
	v_and_b32_e32 v52, 0xfc, v52
	s_mov_b32 s17, 0x3fe5384d
	s_mov_b32 s15, 0x3fcea1e5
	;; [unrolled: 1-line block ×4, first 2 shown]
	v_lshlrev_b32_e32 v66, 4, v52
	s_mov_b32 s23, 0x3fea55e2
	s_mov_b32 s29, 0xbfe5384d
	;; [unrolled: 1-line block ×3, first 2 shown]
	s_wait_alu 0xfffe
	s_mov_b32 s20, s26
	s_clause 0x1
	global_load_b128 v[56:59], v66, s[4:5]
	global_load_b128 v[52:55], v66, s[4:5] offset:16
	s_mov_b32 s30, s12
	s_mov_b32 s22, s34
	;; [unrolled: 1-line block ×4, first 2 shown]
	s_wait_loadcnt 0x1
	v_mul_f64_e32 v[64:65], v[24:25], v[58:59]
	s_delay_alu instid0(VALU_DEP_1) | instskip(SKIP_1) | instid1(VALU_DEP_1)
	v_fma_f64 v[64:65], v[26:27], v[56:57], v[64:65]
	v_mul_f64_e32 v[26:27], v[26:27], v[58:59]
	v_fma_f64 v[83:84], v[24:25], v[56:57], -v[26:27]
	s_clause 0x1
	global_load_b128 v[56:59], v66, s[4:5] offset:176
	global_load_b128 v[67:70], v66, s[4:5] offset:160
	s_wait_loadcnt 0x1
	v_mul_f64_e32 v[24:25], v[48:49], v[58:59]
	v_mul_f64_e32 v[26:27], v[50:51], v[58:59]
	s_delay_alu instid0(VALU_DEP_2) | instskip(NEXT) | instid1(VALU_DEP_2)
	v_fma_f64 v[24:25], v[50:51], v[56:57], v[24:25]
	v_fma_f64 v[26:27], v[48:49], v[56:57], -v[26:27]
	global_load_b128 v[56:59], v66, s[4:5] offset:32
	v_add_f64_e32 v[95:96], v[83:84], v[26:27]
	s_wait_loadcnt 0x0
	v_mul_f64_e32 v[48:49], v[20:21], v[58:59]
	s_delay_alu instid0(VALU_DEP_1) | instskip(SKIP_1) | instid1(VALU_DEP_1)
	v_fma_f64 v[48:49], v[22:23], v[56:57], v[48:49]
	v_mul_f64_e32 v[22:23], v[22:23], v[58:59]
	v_fma_f64 v[50:51], v[20:21], v[56:57], -v[22:23]
	s_clause 0x1
	global_load_b128 v[56:59], v66, s[4:5] offset:144
	global_load_b128 v[71:74], v66, s[4:5] offset:128
	s_wait_loadcnt 0x1
	v_mul_f64_e32 v[20:21], v[44:45], v[58:59]
	v_mul_f64_e32 v[22:23], v[46:47], v[58:59]
	s_delay_alu instid0(VALU_DEP_2) | instskip(NEXT) | instid1(VALU_DEP_2)
	v_fma_f64 v[20:21], v[46:47], v[56:57], v[20:21]
	v_fma_f64 v[22:23], v[44:45], v[56:57], -v[22:23]
	global_load_b128 v[56:59], v66, s[4:5] offset:48
	v_add_f64_e32 v[123:124], v[48:49], v[20:21]
	v_add_f64_e64 v[125:126], v[48:49], -v[20:21]
	v_add_f64_e32 v[127:128], v[50:51], v[22:23]
	s_delay_alu instid0(VALU_DEP_3) | instskip(SKIP_1) | instid1(VALU_DEP_3)
	v_mul_f64_e32 v[169:170], s[0:1], v[123:124]
	s_wait_alu 0xfffe
	v_mul_f64_e32 v[171:172], s[24:25], v[125:126]
	s_wait_loadcnt 0x0
	v_mul_f64_e32 v[44:45], v[28:29], v[58:59]
	s_delay_alu instid0(VALU_DEP_1) | instskip(SKIP_1) | instid1(VALU_DEP_1)
	v_fma_f64 v[44:45], v[30:31], v[56:57], v[44:45]
	v_mul_f64_e32 v[30:31], v[30:31], v[58:59]
	v_fma_f64 v[46:47], v[28:29], v[56:57], -v[30:31]
	v_mul_f64_e32 v[28:29], v[40:41], v[73:74]
	v_mul_f64_e32 v[30:31], v[42:43], v[73:74]
	s_delay_alu instid0(VALU_DEP_2) | instskip(NEXT) | instid1(VALU_DEP_2)
	v_fma_f64 v[28:29], v[42:43], v[71:72], v[28:29]
	v_fma_f64 v[30:31], v[40:41], v[71:72], -v[30:31]
	s_clause 0x1
	global_load_b128 v[56:59], v66, s[4:5] offset:64
	global_load_b128 v[71:74], v66, s[4:5] offset:80
	v_add_f64_e32 v[129:130], v[44:45], v[28:29]
	v_add_f64_e64 v[131:132], v[46:47], -v[30:31]
	v_add_f64_e32 v[135:136], v[46:47], v[30:31]
	s_delay_alu instid0(VALU_DEP_3) | instskip(SKIP_2) | instid1(VALU_DEP_1)
	v_mul_f64_e32 v[173:174], s[2:3], v[129:130]
	s_wait_loadcnt 0x1
	v_mul_f64_e32 v[40:41], v[32:33], v[58:59]
	v_fma_f64 v[40:41], v[34:35], v[56:57], v[40:41]
	v_mul_f64_e32 v[34:35], v[34:35], v[58:59]
	s_delay_alu instid0(VALU_DEP_1)
	v_fma_f64 v[34:35], v[32:33], v[56:57], -v[34:35]
	s_clause 0x1
	global_load_b128 v[56:59], v66, s[4:5] offset:112
	global_load_b128 v[75:78], v66, s[4:5] offset:96
	s_wait_loadcnt 0x1
	v_mul_f64_e32 v[32:33], v[36:37], v[58:59]
	s_delay_alu instid0(VALU_DEP_1) | instskip(SKIP_1) | instid1(VALU_DEP_1)
	v_fma_f64 v[32:33], v[38:39], v[56:57], v[32:33]
	v_mul_f64_e32 v[38:39], v[38:39], v[58:59]
	v_fma_f64 v[36:37], v[36:37], v[56:57], -v[38:39]
	v_mul_f64_e32 v[38:39], v[8:9], v[73:74]
	s_delay_alu instid0(VALU_DEP_2) | instskip(NEXT) | instid1(VALU_DEP_2)
	v_add_f64_e64 v[141:142], v[34:35], -v[36:37]
	v_fma_f64 v[38:39], v[10:11], v[71:72], v[38:39]
	v_mul_f64_e32 v[10:11], v[10:11], v[73:74]
	v_add_f64_e32 v[147:148], v[34:35], v[36:37]
	s_delay_alu instid0(VALU_DEP_2) | instskip(SKIP_2) | instid1(VALU_DEP_1)
	v_fma_f64 v[8:9], v[8:9], v[71:72], -v[10:11]
	s_wait_loadcnt 0x0
	v_mul_f64_e32 v[10:11], v[12:13], v[77:78]
	v_fma_f64 v[10:11], v[14:15], v[75:76], v[10:11]
	v_mul_f64_e32 v[14:15], v[14:15], v[77:78]
	s_delay_alu instid0(VALU_DEP_1) | instskip(SKIP_1) | instid1(VALU_DEP_2)
	v_fma_f64 v[12:13], v[12:13], v[75:76], -v[14:15]
	v_mul_f64_e32 v[14:15], v[4:5], v[54:55]
	v_add_f64_e64 v[153:154], v[8:9], -v[12:13]
	s_delay_alu instid0(VALU_DEP_2) | instskip(SKIP_2) | instid1(VALU_DEP_2)
	v_fma_f64 v[14:15], v[6:7], v[52:53], v[14:15]
	v_mul_f64_e32 v[6:7], v[6:7], v[54:55]
	v_add_f64_e32 v[159:160], v[8:9], v[12:13]
	v_fma_f64 v[42:43], v[4:5], v[52:53], -v[6:7]
	v_mul_f64_e32 v[6:7], v[18:19], v[69:70]
	v_mul_f64_e32 v[4:5], v[16:17], v[69:70]
	s_delay_alu instid0(VALU_DEP_2) | instskip(SKIP_1) | instid1(VALU_DEP_3)
	v_fma_f64 v[6:7], v[16:17], v[67:68], -v[6:7]
	v_add_f64_e32 v[16:17], v[64:65], v[24:25]
	v_fma_f64 v[4:5], v[18:19], v[67:68], v[4:5]
	v_add_f64_e64 v[66:67], v[83:84], -v[26:27]
	s_delay_alu instid0(VALU_DEP_3)
	v_mul_f64_e32 v[18:19], s[0:1], v[16:17]
	v_mul_f64_e32 v[52:53], s[2:3], v[16:17]
	v_mul_f64_e32 v[54:55], s[6:7], v[16:17]
	v_mul_f64_e32 v[56:57], s[10:11], v[16:17]
	v_mul_f64_e32 v[58:59], s[18:19], v[16:17]
	v_mul_f64_e32 v[16:17], s[36:37], v[16:17]
	v_fma_f64 v[68:69], v[66:67], s[14:15], v[18:19]
	v_fma_f64 v[70:71], v[66:67], s[24:25], v[18:19]
	;; [unrolled: 1-line block ×7, first 2 shown]
	v_add_f64_e64 v[16:17], v[64:65], -v[24:25]
	v_fma_f64 v[54:55], v[66:67], s[30:31], v[54:55]
	v_fma_f64 v[85:86], v[66:67], s[20:21], v[56:57]
	;; [unrolled: 1-line block ×5, first 2 shown]
	v_add_f64_e32 v[68:69], v[2:3], v[68:69]
	v_add_f64_e32 v[113:114], v[2:3], v[72:73]
	;; [unrolled: 1-line block ×5, first 2 shown]
	v_mul_f64_e32 v[78:79], s[26:27], v[16:17]
	v_mul_f64_e32 v[18:19], s[24:25], v[16:17]
	;; [unrolled: 1-line block ×6, first 2 shown]
	v_add_f64_e32 v[74:75], v[2:3], v[85:86]
	v_add_f64_e32 v[121:122], v[2:3], v[56:57]
	;; [unrolled: 1-line block ×3, first 2 shown]
	v_mul_f64_e32 v[91:92], s[2:3], v[123:124]
	v_fma_f64 v[105:106], v[95:96], s[10:11], v[78:79]
	v_fma_f64 v[97:98], v[95:96], s[0:1], v[18:19]
	v_fma_f64 v[99:100], v[95:96], s[0:1], -v[18:19]
	v_fma_f64 v[101:102], v[95:96], s[2:3], v[66:67]
	v_fma_f64 v[66:67], v[95:96], s[2:3], -v[66:67]
	;; [unrolled: 2-line block ×3, first 2 shown]
	v_fma_f64 v[107:108], v[95:96], s[10:11], -v[78:79]
	v_fma_f64 v[109:110], v[95:96], s[18:19], v[93:94]
	v_fma_f64 v[93:94], v[95:96], s[18:19], -v[93:94]
	v_fma_f64 v[111:112], v[95:96], s[36:37], v[16:17]
	v_fma_f64 v[95:96], v[95:96], s[36:37], -v[16:17]
	v_add_f64_e32 v[16:17], v[2:3], v[64:65]
	v_add_f64_e32 v[18:19], v[0:1], v[83:84]
	;; [unrolled: 1-line block ×19, first 2 shown]
	v_add_f64_e64 v[0:1], v[42:43], -v[6:7]
	v_add_f64_e64 v[111:112], v[14:15], -v[4:5]
	v_mul_f64_e32 v[87:88], s[36:37], v[58:59]
	v_mul_f64_e32 v[165:166], s[6:7], v[58:59]
	;; [unrolled: 1-line block ×3, first 2 shown]
	s_delay_alu instid0(VALU_DEP_4) | instskip(SKIP_3) | instid1(VALU_DEP_2)
	v_mul_f64_e32 v[89:90], s[40:41], v[111:112]
	v_mul_f64_e32 v[167:168], s[30:31], v[111:112]
	v_fma_f64 v[70:71], v[0:1], s[38:39], v[87:88]
	v_fma_f64 v[87:88], v[0:1], s[40:41], v[87:88]
	v_add_f64_e32 v[85:86], v[70:71], v[68:69]
	v_add_f64_e32 v[68:69], v[42:43], v[6:7]
	s_delay_alu instid0(VALU_DEP_3) | instskip(SKIP_1) | instid1(VALU_DEP_3)
	v_add_f64_e32 v[87:88], v[87:88], v[97:98]
	v_mul_f64_e32 v[97:98], s[20:21], v[111:112]
	v_fma_f64 v[70:71], v[68:69], s[36:37], v[89:90]
	v_fma_f64 v[89:90], v[68:69], s[36:37], -v[89:90]
	s_delay_alu instid0(VALU_DEP_2) | instskip(SKIP_1) | instid1(VALU_DEP_3)
	v_add_f64_e32 v[83:84], v[70:71], v[83:84]
	v_add_f64_e64 v[70:71], v[50:51], -v[22:23]
	v_add_f64_e32 v[89:90], v[89:90], v[99:100]
	v_mul_f64_e32 v[99:100], s[18:19], v[123:124]
	s_delay_alu instid0(VALU_DEP_3) | instskip(SKIP_1) | instid1(VALU_DEP_2)
	v_fma_f64 v[93:94], v[70:71], s[16:17], v[91:92]
	v_fma_f64 v[91:92], v[70:71], s[28:29], v[91:92]
	v_add_f64_e32 v[85:86], v[93:94], v[85:86]
	v_mul_f64_e32 v[93:94], s[28:29], v[125:126]
	s_delay_alu instid0(VALU_DEP_3) | instskip(NEXT) | instid1(VALU_DEP_2)
	v_add_f64_e32 v[87:88], v[91:92], v[87:88]
	v_fma_f64 v[95:96], v[127:128], s[2:3], v[93:94]
	v_fma_f64 v[91:92], v[127:128], s[2:3], -v[93:94]
	s_delay_alu instid0(VALU_DEP_2) | instskip(SKIP_1) | instid1(VALU_DEP_3)
	v_add_f64_e32 v[83:84], v[95:96], v[83:84]
	v_mul_f64_e32 v[95:96], s[18:19], v[129:130]
	v_add_f64_e32 v[89:90], v[91:92], v[89:90]
	s_delay_alu instid0(VALU_DEP_2) | instskip(SKIP_2) | instid1(VALU_DEP_3)
	v_fma_f64 v[133:134], v[131:132], s[34:35], v[95:96]
	v_fma_f64 v[91:92], v[131:132], s[22:23], v[95:96]
	v_mul_f64_e32 v[95:96], s[10:11], v[58:59]
	v_add_f64_e32 v[85:86], v[133:134], v[85:86]
	v_add_f64_e64 v[133:134], v[44:45], -v[28:29]
	s_delay_alu instid0(VALU_DEP_4) | instskip(NEXT) | instid1(VALU_DEP_2)
	v_add_f64_e32 v[87:88], v[91:92], v[87:88]
	v_mul_f64_e32 v[137:138], s[22:23], v[133:134]
	v_mul_f64_e32 v[175:176], s[16:17], v[133:134]
	s_delay_alu instid0(VALU_DEP_2) | instskip(SKIP_1) | instid1(VALU_DEP_2)
	v_fma_f64 v[139:140], v[135:136], s[18:19], v[137:138]
	v_fma_f64 v[91:92], v[135:136], s[18:19], -v[137:138]
	v_add_f64_e32 v[83:84], v[139:140], v[83:84]
	v_add_f64_e32 v[139:140], v[40:41], v[32:33]
	s_delay_alu instid0(VALU_DEP_3) | instskip(NEXT) | instid1(VALU_DEP_2)
	v_add_f64_e32 v[89:90], v[91:92], v[89:90]
	v_mul_f64_e32 v[143:144], s[6:7], v[139:140]
	v_mul_f64_e32 v[177:178], s[10:11], v[139:140]
	s_delay_alu instid0(VALU_DEP_2) | instskip(SKIP_1) | instid1(VALU_DEP_2)
	v_fma_f64 v[145:146], v[141:142], s[12:13], v[143:144]
	v_fma_f64 v[91:92], v[141:142], s[30:31], v[143:144]
	v_add_f64_e32 v[85:86], v[145:146], v[85:86]
	v_add_f64_e64 v[145:146], v[40:41], -v[32:33]
	s_delay_alu instid0(VALU_DEP_3) | instskip(NEXT) | instid1(VALU_DEP_2)
	v_add_f64_e32 v[87:88], v[91:92], v[87:88]
	v_mul_f64_e32 v[149:150], s[30:31], v[145:146]
	v_mul_f64_e32 v[179:180], s[20:21], v[145:146]
	s_delay_alu instid0(VALU_DEP_2) | instskip(SKIP_1) | instid1(VALU_DEP_2)
	v_fma_f64 v[151:152], v[147:148], s[6:7], v[149:150]
	v_fma_f64 v[91:92], v[147:148], s[6:7], -v[149:150]
	v_add_f64_e32 v[83:84], v[151:152], v[83:84]
	v_add_f64_e32 v[151:152], v[38:39], v[10:11]
	s_delay_alu instid0(VALU_DEP_3) | instskip(NEXT) | instid1(VALU_DEP_2)
	v_add_f64_e32 v[91:92], v[91:92], v[89:90]
	v_mul_f64_e32 v[155:156], s[10:11], v[151:152]
	v_mul_f64_e32 v[181:182], s[36:37], v[151:152]
	s_delay_alu instid0(VALU_DEP_2) | instskip(SKIP_1) | instid1(VALU_DEP_2)
	v_fma_f64 v[157:158], v[153:154], s[26:27], v[155:156]
	v_fma_f64 v[89:90], v[153:154], s[20:21], v[155:156]
	v_add_f64_e32 v[85:86], v[157:158], v[85:86]
	v_add_f64_e64 v[157:158], v[38:39], -v[10:11]
	s_delay_alu instid0(VALU_DEP_3) | instskip(NEXT) | instid1(VALU_DEP_2)
	v_add_f64_e32 v[89:90], v[89:90], v[87:88]
	v_mul_f64_e32 v[161:162], s[20:21], v[157:158]
	v_mul_f64_e32 v[183:184], s[40:41], v[157:158]
	s_delay_alu instid0(VALU_DEP_2) | instskip(SKIP_2) | instid1(VALU_DEP_3)
	v_fma_f64 v[93:94], v[159:160], s[10:11], -v[161:162]
	v_fma_f64 v[163:164], v[159:160], s[10:11], v[161:162]
	v_mul_f64_e32 v[161:162], s[6:7], v[151:152]
	v_add_f64_e32 v[87:88], v[93:94], v[91:92]
	v_fma_f64 v[91:92], v[0:1], s[26:27], v[95:96]
	v_fma_f64 v[93:94], v[68:69], s[10:11], v[97:98]
	;; [unrolled: 1-line block ×3, first 2 shown]
	v_fma_f64 v[97:98], v[68:69], s[10:11], -v[97:98]
	v_add_f64_e32 v[83:84], v[163:164], v[83:84]
	v_mul_f64_e32 v[163:164], s[30:31], v[157:158]
	v_add_f64_e32 v[91:92], v[91:92], v[113:114]
	v_add_f64_e32 v[93:94], v[93:94], v[101:102]
	v_fma_f64 v[101:102], v[70:71], s[22:23], v[99:100]
	v_add_f64_e32 v[95:96], v[95:96], v[115:116]
	v_fma_f64 v[99:100], v[70:71], s[34:35], v[99:100]
	v_add_f64_e32 v[97:98], v[97:98], v[117:118]
	v_mul_f64_e32 v[115:116], s[16:17], v[111:112]
	v_mul_f64_e32 v[117:118], s[36:37], v[123:124]
	v_add_f64_e32 v[91:92], v[101:102], v[91:92]
	v_mul_f64_e32 v[101:102], s[34:35], v[125:126]
	v_add_f64_e32 v[95:96], v[99:100], v[95:96]
	s_delay_alu instid0(VALU_DEP_2) | instskip(SKIP_2) | instid1(VALU_DEP_3)
	v_fma_f64 v[113:114], v[127:128], s[18:19], v[101:102]
	v_fma_f64 v[99:100], v[127:128], s[18:19], -v[101:102]
	v_fma_f64 v[101:102], v[159:160], s[6:7], -v[163:164]
	v_add_f64_e32 v[93:94], v[113:114], v[93:94]
	v_mul_f64_e32 v[113:114], s[0:1], v[129:130]
	s_delay_alu instid0(VALU_DEP_4) | instskip(NEXT) | instid1(VALU_DEP_2)
	v_add_f64_e32 v[97:98], v[99:100], v[97:98]
	v_fma_f64 v[137:138], v[131:132], s[24:25], v[113:114]
	v_fma_f64 v[99:100], v[131:132], s[14:15], v[113:114]
	v_mul_f64_e32 v[113:114], s[2:3], v[58:59]
	s_delay_alu instid0(VALU_DEP_3) | instskip(SKIP_1) | instid1(VALU_DEP_4)
	v_add_f64_e32 v[91:92], v[137:138], v[91:92]
	v_mul_f64_e32 v[137:138], s[14:15], v[133:134]
	v_add_f64_e32 v[95:96], v[99:100], v[95:96]
	s_delay_alu instid0(VALU_DEP_2) | instskip(SKIP_2) | instid1(VALU_DEP_3)
	v_fma_f64 v[143:144], v[135:136], s[0:1], v[137:138]
	v_fma_f64 v[99:100], v[135:136], s[0:1], -v[137:138]
	v_mul_f64_e32 v[137:138], s[10:11], v[129:130]
	v_add_f64_e32 v[93:94], v[143:144], v[93:94]
	v_mul_f64_e32 v[143:144], s[36:37], v[139:140]
	s_delay_alu instid0(VALU_DEP_4) | instskip(NEXT) | instid1(VALU_DEP_2)
	v_add_f64_e32 v[97:98], v[99:100], v[97:98]
	v_fma_f64 v[149:150], v[141:142], s[38:39], v[143:144]
	v_fma_f64 v[99:100], v[141:142], s[40:41], v[143:144]
	v_mul_f64_e32 v[143:144], s[26:27], v[133:134]
	s_delay_alu instid0(VALU_DEP_3) | instskip(SKIP_1) | instid1(VALU_DEP_4)
	v_add_f64_e32 v[91:92], v[149:150], v[91:92]
	v_mul_f64_e32 v[149:150], s[40:41], v[145:146]
	v_add_f64_e32 v[95:96], v[99:100], v[95:96]
	s_delay_alu instid0(VALU_DEP_2) | instskip(SKIP_2) | instid1(VALU_DEP_3)
	v_fma_f64 v[99:100], v[147:148], s[36:37], -v[149:150]
	v_fma_f64 v[155:156], v[147:148], s[36:37], v[149:150]
	v_mul_f64_e32 v[149:150], s[0:1], v[139:140]
	v_add_f64_e32 v[99:100], v[99:100], v[97:98]
	v_fma_f64 v[97:98], v[153:154], s[30:31], v[161:162]
	s_delay_alu instid0(VALU_DEP_4) | instskip(SKIP_2) | instid1(VALU_DEP_4)
	v_add_f64_e32 v[155:156], v[155:156], v[93:94]
	v_fma_f64 v[93:94], v[153:154], s[12:13], v[161:162]
	v_mul_f64_e32 v[161:162], s[18:19], v[151:152]
	v_add_f64_e32 v[97:98], v[97:98], v[95:96]
	v_add_f64_e32 v[95:96], v[101:102], v[99:100]
	v_fma_f64 v[99:100], v[0:1], s[28:29], v[113:114]
	v_fma_f64 v[101:102], v[68:69], s[2:3], v[115:116]
	v_add_f64_e32 v[93:94], v[93:94], v[91:92]
	v_fma_f64 v[91:92], v[159:160], s[6:7], v[163:164]
	v_mul_f64_e32 v[163:164], s[22:23], v[157:158]
	v_fma_f64 v[113:114], v[0:1], s[16:17], v[113:114]
	v_add_f64_e32 v[99:100], v[99:100], v[119:120]
	v_add_f64_e32 v[101:102], v[101:102], v[103:104]
	v_fma_f64 v[103:104], v[70:71], s[38:39], v[117:118]
	v_mul_f64_e32 v[119:120], s[40:41], v[125:126]
	v_add_f64_e32 v[91:92], v[91:92], v[155:156]
	v_mul_f64_e32 v[155:156], s[14:15], v[145:146]
	v_add_f64_e32 v[78:79], v[113:114], v[78:79]
	v_fma_f64 v[113:114], v[68:69], s[2:3], -v[115:116]
	v_fma_f64 v[115:116], v[159:160], s[18:19], -v[163:164]
	v_add_f64_e32 v[99:100], v[103:104], v[99:100]
	v_fma_f64 v[103:104], v[127:128], s[36:37], v[119:120]
	s_delay_alu instid0(VALU_DEP_4) | instskip(SKIP_2) | instid1(VALU_DEP_4)
	v_add_f64_e32 v[76:77], v[113:114], v[76:77]
	v_fma_f64 v[113:114], v[70:71], s[40:41], v[117:118]
	v_mul_f64_e32 v[117:118], s[26:27], v[125:126]
	v_add_f64_e32 v[101:102], v[103:104], v[101:102]
	v_fma_f64 v[103:104], v[131:132], s[20:21], v[137:138]
	s_delay_alu instid0(VALU_DEP_4) | instskip(SKIP_2) | instid1(VALU_DEP_4)
	v_add_f64_e32 v[78:79], v[113:114], v[78:79]
	v_fma_f64 v[113:114], v[127:128], s[36:37], -v[119:120]
	v_mul_f64_e32 v[119:120], s[6:7], v[129:130]
	v_add_f64_e32 v[99:100], v[103:104], v[99:100]
	v_fma_f64 v[103:104], v[135:136], s[10:11], v[143:144]
	s_delay_alu instid0(VALU_DEP_4) | instskip(SKIP_1) | instid1(VALU_DEP_3)
	v_add_f64_e32 v[76:77], v[113:114], v[76:77]
	v_fma_f64 v[113:114], v[131:132], s[26:27], v[137:138]
	v_add_f64_e32 v[101:102], v[103:104], v[101:102]
	v_fma_f64 v[103:104], v[141:142], s[24:25], v[149:150]
	s_delay_alu instid0(VALU_DEP_3) | instskip(SKIP_1) | instid1(VALU_DEP_3)
	v_add_f64_e32 v[78:79], v[113:114], v[78:79]
	v_fma_f64 v[113:114], v[135:136], s[10:11], -v[143:144]
	v_add_f64_e32 v[99:100], v[103:104], v[99:100]
	v_fma_f64 v[103:104], v[147:148], s[0:1], v[155:156]
	s_delay_alu instid0(VALU_DEP_3) | instskip(SKIP_1) | instid1(VALU_DEP_3)
	v_add_f64_e32 v[76:77], v[113:114], v[76:77]
	v_fma_f64 v[113:114], v[141:142], s[14:15], v[149:150]
	v_add_f64_e32 v[103:104], v[103:104], v[101:102]
	v_fma_f64 v[101:102], v[153:154], s[34:35], v[161:162]
	s_delay_alu instid0(VALU_DEP_3) | instskip(SKIP_1) | instid1(VALU_DEP_3)
	v_add_f64_e32 v[78:79], v[113:114], v[78:79]
	v_fma_f64 v[113:114], v[147:148], s[0:1], -v[155:156]
	v_add_f64_e32 v[101:102], v[101:102], v[99:100]
	v_fma_f64 v[99:100], v[159:160], s[18:19], v[163:164]
	s_delay_alu instid0(VALU_DEP_3) | instskip(SKIP_1) | instid1(VALU_DEP_3)
	v_add_f64_e32 v[76:77], v[113:114], v[76:77]
	v_fma_f64 v[113:114], v[153:154], s[22:23], v[161:162]
	v_add_f64_e32 v[99:100], v[99:100], v[103:104]
	v_fma_f64 v[103:104], v[0:1], s[30:31], v[165:166]
	s_delay_alu instid0(VALU_DEP_4) | instskip(NEXT) | instid1(VALU_DEP_4)
	v_add_f64_e32 v[76:77], v[115:116], v[76:77]
	v_add_f64_e32 v[78:79], v[113:114], v[78:79]
	v_fma_f64 v[113:114], v[0:1], s[14:15], v[185:186]
	s_delay_alu instid0(VALU_DEP_4) | instskip(SKIP_1) | instid1(VALU_DEP_3)
	v_add_f64_e32 v[103:104], v[103:104], v[105:106]
	v_fma_f64 v[105:106], v[68:69], s[6:7], -v[167:168]
	v_add_f64_e32 v[74:75], v[113:114], v[74:75]
	s_delay_alu instid0(VALU_DEP_2) | instskip(SKIP_1) | instid1(VALU_DEP_1)
	v_add_f64_e32 v[105:106], v[105:106], v[109:110]
	v_fma_f64 v[109:110], v[70:71], s[24:25], v[169:170]
	v_add_f64_e32 v[103:104], v[109:110], v[103:104]
	v_fma_f64 v[109:110], v[127:128], s[0:1], -v[171:172]
	s_delay_alu instid0(VALU_DEP_1) | instskip(SKIP_1) | instid1(VALU_DEP_1)
	v_add_f64_e32 v[105:106], v[109:110], v[105:106]
	v_fma_f64 v[109:110], v[131:132], s[16:17], v[173:174]
	v_add_f64_e32 v[103:104], v[109:110], v[103:104]
	v_fma_f64 v[109:110], v[135:136], s[2:3], -v[175:176]
	s_delay_alu instid0(VALU_DEP_1) | instskip(SKIP_1) | instid1(VALU_DEP_1)
	;; [unrolled: 5-line block ×4, first 2 shown]
	v_add_f64_e32 v[103:104], v[103:104], v[109:110]
	v_fma_f64 v[109:110], v[0:1], s[24:25], v[185:186]
	v_add_f64_e32 v[109:110], v[109:110], v[121:122]
	v_mul_f64_e32 v[121:122], s[24:25], v[111:112]
	v_mul_f64_e32 v[111:112], s[34:35], v[111:112]
	s_delay_alu instid0(VALU_DEP_2) | instskip(SKIP_2) | instid1(VALU_DEP_3)
	v_fma_f64 v[187:188], v[68:69], s[0:1], -v[121:122]
	v_fma_f64 v[113:114], v[68:69], s[0:1], v[121:122]
	v_mul_f64_e32 v[121:122], s[30:31], v[133:134]
	v_add_f64_e32 v[107:108], v[187:188], v[107:108]
	v_mul_f64_e32 v[187:188], s[6:7], v[123:124]
	s_delay_alu instid0(VALU_DEP_4) | instskip(NEXT) | instid1(VALU_DEP_2)
	v_add_f64_e32 v[72:73], v[113:114], v[72:73]
	v_fma_f64 v[189:190], v[70:71], s[12:13], v[187:188]
	v_fma_f64 v[113:114], v[70:71], s[30:31], v[187:188]
	s_delay_alu instid0(VALU_DEP_2) | instskip(SKIP_1) | instid1(VALU_DEP_3)
	v_add_f64_e32 v[109:110], v[189:190], v[109:110]
	v_mul_f64_e32 v[189:190], s[12:13], v[125:126]
	v_add_f64_e32 v[74:75], v[113:114], v[74:75]
	v_mul_f64_e32 v[125:126], s[28:29], v[145:146]
	s_delay_alu instid0(VALU_DEP_3) | instskip(SKIP_1) | instid1(VALU_DEP_2)
	v_fma_f64 v[191:192], v[127:128], s[6:7], -v[189:190]
	v_fma_f64 v[113:114], v[127:128], s[6:7], v[189:190]
	v_add_f64_e32 v[107:108], v[191:192], v[107:108]
	v_mul_f64_e32 v[191:192], s[36:37], v[129:130]
	s_delay_alu instid0(VALU_DEP_3) | instskip(SKIP_1) | instid1(VALU_DEP_3)
	v_add_f64_e32 v[72:73], v[113:114], v[72:73]
	v_mul_f64_e32 v[129:130], s[0:1], v[151:152]
	v_fma_f64 v[193:194], v[131:132], s[40:41], v[191:192]
	v_fma_f64 v[113:114], v[131:132], s[38:39], v[191:192]
	s_delay_alu instid0(VALU_DEP_2) | instskip(SKIP_1) | instid1(VALU_DEP_3)
	v_add_f64_e32 v[109:110], v[193:194], v[109:110]
	v_mul_f64_e32 v[193:194], s[40:41], v[133:134]
	v_add_f64_e32 v[74:75], v[113:114], v[74:75]
	v_mul_f64_e32 v[133:134], s[24:25], v[157:158]
	s_delay_alu instid0(VALU_DEP_3) | instskip(SKIP_1) | instid1(VALU_DEP_2)
	v_fma_f64 v[195:196], v[135:136], s[36:37], -v[193:194]
	v_fma_f64 v[113:114], v[135:136], s[36:37], v[193:194]
	v_add_f64_e32 v[107:108], v[195:196], v[107:108]
	v_mul_f64_e32 v[195:196], s[18:19], v[139:140]
	s_delay_alu instid0(VALU_DEP_3) | instskip(NEXT) | instid1(VALU_DEP_2)
	v_add_f64_e32 v[72:73], v[113:114], v[72:73]
	v_fma_f64 v[197:198], v[141:142], s[34:35], v[195:196]
	v_fma_f64 v[113:114], v[141:142], s[22:23], v[195:196]
	s_delay_alu instid0(VALU_DEP_2) | instskip(SKIP_1) | instid1(VALU_DEP_3)
	v_add_f64_e32 v[109:110], v[197:198], v[109:110]
	v_mul_f64_e32 v[197:198], s[34:35], v[145:146]
	v_add_f64_e32 v[74:75], v[113:114], v[74:75]
	s_delay_alu instid0(VALU_DEP_2) | instskip(SKIP_1) | instid1(VALU_DEP_2)
	v_fma_f64 v[199:200], v[147:148], s[18:19], -v[197:198]
	v_fma_f64 v[113:114], v[147:148], s[18:19], v[197:198]
	v_add_f64_e32 v[107:108], v[199:200], v[107:108]
	v_mul_f64_e32 v[199:200], s[2:3], v[151:152]
	s_delay_alu instid0(VALU_DEP_3) | instskip(NEXT) | instid1(VALU_DEP_2)
	v_add_f64_e32 v[72:73], v[113:114], v[72:73]
	v_fma_f64 v[113:114], v[153:154], s[16:17], v[199:200]
	v_fma_f64 v[201:202], v[153:154], s[28:29], v[199:200]
	s_delay_alu instid0(VALU_DEP_2) | instskip(SKIP_1) | instid1(VALU_DEP_3)
	v_add_f64_e32 v[74:75], v[113:114], v[74:75]
	v_fma_f64 v[113:114], v[0:1], s[12:13], v[165:166]
	v_add_f64_e32 v[109:110], v[201:202], v[109:110]
	v_mul_f64_e32 v[201:202], s[28:29], v[157:158]
	s_delay_alu instid0(VALU_DEP_3) | instskip(SKIP_1) | instid1(VALU_DEP_3)
	v_add_f64_e32 v[66:67], v[113:114], v[66:67]
	v_fma_f64 v[113:114], v[68:69], s[6:7], v[167:168]
	v_fma_f64 v[115:116], v[159:160], s[2:3], v[201:202]
	v_fma_f64 v[203:204], v[159:160], s[2:3], -v[201:202]
	s_delay_alu instid0(VALU_DEP_3) | instskip(SKIP_1) | instid1(VALU_DEP_4)
	v_add_f64_e32 v[64:65], v[113:114], v[64:65]
	v_fma_f64 v[113:114], v[70:71], s[14:15], v[169:170]
	v_add_f64_e32 v[72:73], v[115:116], v[72:73]
	v_fma_f64 v[115:116], v[159:160], s[36:37], v[183:184]
	v_add_f64_e32 v[107:108], v[203:204], v[107:108]
	s_delay_alu instid0(VALU_DEP_4) | instskip(SKIP_1) | instid1(VALU_DEP_1)
	v_add_f64_e32 v[66:67], v[113:114], v[66:67]
	v_fma_f64 v[113:114], v[127:128], s[0:1], v[171:172]
	v_add_f64_e32 v[64:65], v[113:114], v[64:65]
	v_fma_f64 v[113:114], v[131:132], s[28:29], v[173:174]
	s_delay_alu instid0(VALU_DEP_1) | instskip(SKIP_1) | instid1(VALU_DEP_1)
	v_add_f64_e32 v[66:67], v[113:114], v[66:67]
	v_fma_f64 v[113:114], v[135:136], s[2:3], v[175:176]
	v_add_f64_e32 v[64:65], v[113:114], v[64:65]
	v_fma_f64 v[113:114], v[141:142], s[26:27], v[177:178]
	s_delay_alu instid0(VALU_DEP_1) | instskip(SKIP_1) | instid1(VALU_DEP_1)
	v_add_f64_e32 v[66:67], v[113:114], v[66:67]
	v_fma_f64 v[113:114], v[147:148], s[10:11], v[179:180]
	v_add_f64_e32 v[64:65], v[113:114], v[64:65]
	v_fma_f64 v[113:114], v[153:154], s[38:39], v[181:182]
	s_delay_alu instid0(VALU_DEP_2) | instskip(NEXT) | instid1(VALU_DEP_2)
	v_add_f64_e32 v[64:65], v[115:116], v[64:65]
	v_add_f64_e32 v[66:67], v[113:114], v[66:67]
	v_mul_f64_e32 v[113:114], s[18:19], v[58:59]
	v_mul_f64_e32 v[115:116], s[10:11], v[123:124]
	;; [unrolled: 1-line block ×3, first 2 shown]
	s_delay_alu instid0(VALU_DEP_3) | instskip(SKIP_1) | instid1(VALU_DEP_2)
	v_fma_f64 v[58:59], v[0:1], s[34:35], v[113:114]
	v_fma_f64 v[0:1], v[0:1], s[22:23], v[113:114]
	v_add_f64_e32 v[56:57], v[58:59], v[56:57]
	v_fma_f64 v[58:59], v[68:69], s[18:19], -v[111:112]
	s_delay_alu instid0(VALU_DEP_3) | instskip(NEXT) | instid1(VALU_DEP_2)
	v_add_f64_e32 v[0:1], v[0:1], v[52:53]
	v_add_f64_e32 v[2:3], v[58:59], v[2:3]
	v_fma_f64 v[58:59], v[70:71], s[26:27], v[115:116]
	s_delay_alu instid0(VALU_DEP_1) | instskip(SKIP_1) | instid1(VALU_DEP_1)
	v_add_f64_e32 v[56:57], v[58:59], v[56:57]
	v_fma_f64 v[58:59], v[127:128], s[10:11], -v[117:118]
	v_add_f64_e32 v[2:3], v[58:59], v[2:3]
	v_fma_f64 v[58:59], v[131:132], s[30:31], v[119:120]
	s_delay_alu instid0(VALU_DEP_1) | instskip(SKIP_1) | instid1(VALU_DEP_1)
	v_add_f64_e32 v[56:57], v[58:59], v[56:57]
	v_fma_f64 v[58:59], v[135:136], s[6:7], -v[121:122]
	;; [unrolled: 5-line block ×4, first 2 shown]
	v_add_f64_e32 v[56:57], v[56:57], v[2:3]
	v_add_f64_e32 v[2:3], v[16:17], v[14:15]
	;; [unrolled: 1-line block ×3, first 2 shown]
	s_delay_alu instid0(VALU_DEP_2) | instskip(NEXT) | instid1(VALU_DEP_2)
	v_add_f64_e32 v[2:3], v[2:3], v[48:49]
	v_add_f64_e32 v[14:15], v[14:15], v[50:51]
	s_delay_alu instid0(VALU_DEP_2) | instskip(NEXT) | instid1(VALU_DEP_2)
	v_add_f64_e32 v[2:3], v[2:3], v[44:45]
	v_add_f64_e32 v[14:15], v[14:15], v[46:47]
	;; [unrolled: 3-line block ×4, first 2 shown]
	v_fma_f64 v[14:15], v[135:136], s[6:7], v[121:122]
	s_delay_alu instid0(VALU_DEP_3) | instskip(NEXT) | instid1(VALU_DEP_3)
	v_add_f64_e32 v[2:3], v[2:3], v[10:11]
	v_add_f64_e32 v[8:9], v[8:9], v[12:13]
	v_fma_f64 v[10:11], v[127:128], s[10:11], v[117:118]
	v_fma_f64 v[12:13], v[131:132], s[12:13], v[119:120]
	s_delay_alu instid0(VALU_DEP_4) | instskip(NEXT) | instid1(VALU_DEP_4)
	v_add_f64_e32 v[2:3], v[2:3], v[32:33]
	v_add_f64_e32 v[8:9], v[8:9], v[36:37]
	s_delay_alu instid0(VALU_DEP_2) | instskip(NEXT) | instid1(VALU_DEP_2)
	v_add_f64_e32 v[2:3], v[2:3], v[28:29]
	v_add_f64_e32 v[8:9], v[8:9], v[30:31]
	s_delay_alu instid0(VALU_DEP_2) | instskip(NEXT) | instid1(VALU_DEP_2)
	;; [unrolled: 3-line block ×3, first 2 shown]
	v_add_f64_e32 v[2:3], v[2:3], v[4:5]
	v_add_f64_e32 v[6:7], v[8:9], v[6:7]
	v_fma_f64 v[8:9], v[70:71], s[20:21], v[115:116]
	s_delay_alu instid0(VALU_DEP_3) | instskip(NEXT) | instid1(VALU_DEP_3)
	v_add_f64_e32 v[4:5], v[2:3], v[24:25]
	v_add_f64_e32 v[2:3], v[6:7], v[26:27]
	v_fma_f64 v[6:7], v[68:69], s[18:19], v[111:112]
	s_delay_alu instid0(VALU_DEP_4) | instskip(SKIP_1) | instid1(VALU_DEP_3)
	v_add_f64_e32 v[0:1], v[8:9], v[0:1]
	v_fma_f64 v[8:9], v[141:142], s[16:17], v[123:124]
	v_add_f64_e32 v[6:7], v[6:7], v[54:55]
	s_delay_alu instid0(VALU_DEP_3) | instskip(SKIP_1) | instid1(VALU_DEP_3)
	v_add_f64_e32 v[0:1], v[12:13], v[0:1]
	v_fma_f64 v[12:13], v[153:154], s[14:15], v[129:130]
	v_add_f64_e32 v[6:7], v[10:11], v[6:7]
	v_fma_f64 v[10:11], v[147:148], s[2:3], v[125:126]
	s_delay_alu instid0(VALU_DEP_4) | instskip(NEXT) | instid1(VALU_DEP_3)
	v_add_f64_e32 v[0:1], v[8:9], v[0:1]
	v_add_f64_e32 v[6:7], v[14:15], v[6:7]
	v_fma_f64 v[14:15], v[159:160], s[0:1], v[133:134]
	s_delay_alu instid0(VALU_DEP_3) | instskip(NEXT) | instid1(VALU_DEP_3)
	v_add_f64_e32 v[8:9], v[12:13], v[0:1]
	v_add_f64_e32 v[6:7], v[10:11], v[6:7]
	s_delay_alu instid0(VALU_DEP_1)
	v_add_f64_e32 v[6:7], v[14:15], v[6:7]
	ds_store_b128 v61, v[103:106] offset:192
	ds_store_b128 v61, v[107:110] offset:288
	;; [unrolled: 1-line block ×11, first 2 shown]
	ds_store_b128 v80, v[2:5]
	ds_store_b128 v61, v[6:9] offset:1152
.LBB0_14:
	s_or_b32 exec_lo, exec_lo, s33
	global_wb scope:SCOPE_SE
	s_wait_dscnt 0x0
	s_barrier_signal -1
	s_barrier_wait -1
	global_inv scope:SCOPE_SE
	ds_load_b128 v[0:3], v80
	v_sub_nc_u32_e32 v10, v82, v81
	s_mov_b32 s1, exec_lo
                                        ; implicit-def: $vgpr6_vgpr7
                                        ; implicit-def: $vgpr4_vgpr5
                                        ; implicit-def: $vgpr8_vgpr9
	v_cmpx_ne_u32_e32 0, v60
	s_wait_alu 0xfffe
	s_xor_b32 s1, exec_lo, s1
	s_cbranch_execz .LBB0_16
; %bb.15:
	v_mov_b32_e32 v61, 0
	ds_load_b128 v[11:14], v10 offset:1248
                                        ; implicit-def: $vgpr82
	v_lshlrev_b64_e32 v[4:5], 4, v[60:61]
	s_delay_alu instid0(VALU_DEP_1) | instskip(SKIP_1) | instid1(VALU_DEP_2)
	v_add_co_u32 v4, s0, s4, v4
	s_wait_alu 0xf1ff
	v_add_co_ci_u32_e64 v5, s0, s5, v5, s0
	global_load_b128 v[6:9], v[4:5], off offset:1152
	s_wait_dscnt 0x0
	v_add_f64_e64 v[4:5], v[0:1], -v[11:12]
	v_add_f64_e32 v[15:16], v[2:3], v[13:14]
	v_add_f64_e64 v[2:3], v[2:3], -v[13:14]
	v_add_f64_e32 v[0:1], v[0:1], v[11:12]
	s_delay_alu instid0(VALU_DEP_4) | instskip(NEXT) | instid1(VALU_DEP_4)
	v_mul_f64_e32 v[4:5], 0.5, v[4:5]
	v_mul_f64_e32 v[13:14], 0.5, v[15:16]
	s_delay_alu instid0(VALU_DEP_4) | instskip(SKIP_1) | instid1(VALU_DEP_3)
	v_mul_f64_e32 v[2:3], 0.5, v[2:3]
	s_wait_loadcnt 0x0
	v_mul_f64_e32 v[11:12], v[4:5], v[8:9]
	s_delay_alu instid0(VALU_DEP_2) | instskip(SKIP_1) | instid1(VALU_DEP_3)
	v_fma_f64 v[15:16], v[13:14], v[8:9], v[2:3]
	v_fma_f64 v[2:3], v[13:14], v[8:9], -v[2:3]
	v_fma_f64 v[8:9], v[0:1], 0.5, v[11:12]
	v_fma_f64 v[0:1], v[0:1], 0.5, -v[11:12]
	s_delay_alu instid0(VALU_DEP_4) | instskip(NEXT) | instid1(VALU_DEP_4)
	v_fma_f64 v[11:12], -v[6:7], v[4:5], v[15:16]
	v_fma_f64 v[2:3], -v[6:7], v[4:5], v[2:3]
	ds_store_b64 v80, v[11:12] offset:8
	ds_store_b64 v10, v[2:3] offset:1256
	v_fma_f64 v[4:5], v[13:14], v[6:7], v[8:9]
	v_fma_f64 v[6:7], -v[13:14], v[6:7], v[0:1]
	v_dual_mov_b32 v8, v60 :: v_dual_mov_b32 v9, v61
                                        ; implicit-def: $vgpr0_vgpr1
.LBB0_16:
	s_wait_alu 0xfffe
	s_and_not1_saveexec_b32 s0, s1
	s_cbranch_execz .LBB0_18
; %bb.17:
	s_wait_dscnt 0x0
	v_add_f64_e32 v[4:5], v[0:1], v[2:3]
	v_add_f64_e64 v[6:7], v[0:1], -v[2:3]
	s_mov_b32 s2, 0
	v_mov_b32_e32 v8, 0
	s_wait_alu 0xfffe
	s_mov_b32 s3, s2
	s_wait_alu 0xfffe
	v_dual_mov_b32 v0, s2 :: v_dual_mov_b32 v1, s3
	v_mov_b32_e32 v9, 0
	ds_store_b64 v80, v[0:1] offset:8
	ds_store_b64 v10, v[0:1] offset:1256
	ds_load_b64 v[0:1], v82 offset:632
	s_wait_dscnt 0x0
	v_xor_b32_e32 v1, 0x80000000, v1
	ds_store_b64 v82, v[0:1] offset:632
.LBB0_18:
	s_wait_alu 0xfffe
	s_or_b32 exec_lo, exec_lo, s0
	s_wait_dscnt 0x0
	v_lshlrev_b64_e32 v[0:1], 4, v[8:9]
	s_add_nc_u64 s[0:1], s[4:5], 0x480
	s_wait_alu 0xfffe
	s_delay_alu instid0(VALU_DEP_1) | instskip(SKIP_1) | instid1(VALU_DEP_2)
	v_add_co_u32 v2, s0, s0, v0
	s_wait_alu 0xf1ff
	v_add_co_ci_u32_e64 v3, s0, s1, v1, s0
	s_clause 0x1
	global_load_b128 v[11:14], v[2:3], off offset:208
	global_load_b128 v[15:18], v[2:3], off offset:416
	ds_store_b64 v80, v[4:5]
	ds_store_b64 v10, v[6:7] offset:1248
	ds_load_b128 v[2:5], v80 offset:208
	ds_load_b128 v[6:9], v10 offset:1040
	s_wait_dscnt 0x0
	v_add_f64_e64 v[19:20], v[2:3], -v[6:7]
	v_add_f64_e32 v[21:22], v[4:5], v[8:9]
	v_add_f64_e64 v[4:5], v[4:5], -v[8:9]
	v_add_f64_e32 v[2:3], v[2:3], v[6:7]
	s_delay_alu instid0(VALU_DEP_4) | instskip(NEXT) | instid1(VALU_DEP_4)
	v_mul_f64_e32 v[8:9], 0.5, v[19:20]
	v_mul_f64_e32 v[19:20], 0.5, v[21:22]
	s_delay_alu instid0(VALU_DEP_4) | instskip(SKIP_1) | instid1(VALU_DEP_3)
	v_mul_f64_e32 v[4:5], 0.5, v[4:5]
	s_wait_loadcnt 0x1
	v_mul_f64_e32 v[6:7], v[8:9], v[13:14]
	s_delay_alu instid0(VALU_DEP_2) | instskip(SKIP_1) | instid1(VALU_DEP_3)
	v_fma_f64 v[21:22], v[19:20], v[13:14], v[4:5]
	v_fma_f64 v[4:5], v[19:20], v[13:14], -v[4:5]
	v_fma_f64 v[13:14], v[2:3], 0.5, v[6:7]
	v_fma_f64 v[2:3], v[2:3], 0.5, -v[6:7]
	s_delay_alu instid0(VALU_DEP_4) | instskip(NEXT) | instid1(VALU_DEP_4)
	v_fma_f64 v[6:7], -v[11:12], v[8:9], v[21:22]
	v_fma_f64 v[4:5], -v[11:12], v[8:9], v[4:5]
	s_delay_alu instid0(VALU_DEP_4) | instskip(NEXT) | instid1(VALU_DEP_4)
	v_fma_f64 v[8:9], v[19:20], v[11:12], v[13:14]
	v_fma_f64 v[2:3], -v[19:20], v[11:12], v[2:3]
	ds_store_2addr_b64 v80, v[8:9], v[6:7] offset0:26 offset1:27
	ds_store_b128 v10, v[2:5] offset:1040
	ds_load_b128 v[2:5], v80 offset:416
	ds_load_b128 v[6:9], v10 offset:832
	s_wait_dscnt 0x0
	v_add_f64_e64 v[11:12], v[2:3], -v[6:7]
	v_add_f64_e32 v[13:14], v[4:5], v[8:9]
	v_add_f64_e64 v[4:5], v[4:5], -v[8:9]
	v_add_f64_e32 v[2:3], v[2:3], v[6:7]
	s_delay_alu instid0(VALU_DEP_4) | instskip(NEXT) | instid1(VALU_DEP_4)
	v_mul_f64_e32 v[8:9], 0.5, v[11:12]
	v_mul_f64_e32 v[11:12], 0.5, v[13:14]
	s_delay_alu instid0(VALU_DEP_4) | instskip(SKIP_1) | instid1(VALU_DEP_3)
	v_mul_f64_e32 v[4:5], 0.5, v[4:5]
	s_wait_loadcnt 0x0
	v_mul_f64_e32 v[6:7], v[8:9], v[17:18]
	s_delay_alu instid0(VALU_DEP_2) | instskip(SKIP_1) | instid1(VALU_DEP_3)
	v_fma_f64 v[13:14], v[11:12], v[17:18], v[4:5]
	v_fma_f64 v[4:5], v[11:12], v[17:18], -v[4:5]
	v_fma_f64 v[17:18], v[2:3], 0.5, v[6:7]
	v_fma_f64 v[2:3], v[2:3], 0.5, -v[6:7]
	s_delay_alu instid0(VALU_DEP_4) | instskip(NEXT) | instid1(VALU_DEP_4)
	v_fma_f64 v[6:7], -v[15:16], v[8:9], v[13:14]
	v_fma_f64 v[4:5], -v[15:16], v[8:9], v[4:5]
	s_delay_alu instid0(VALU_DEP_4) | instskip(NEXT) | instid1(VALU_DEP_4)
	v_fma_f64 v[8:9], v[11:12], v[15:16], v[17:18]
	v_fma_f64 v[2:3], -v[11:12], v[15:16], v[2:3]
	ds_store_2addr_b64 v80, v[8:9], v[6:7] offset0:52 offset1:53
	ds_store_b128 v10, v[2:5] offset:832
	global_wb scope:SCOPE_SE
	s_wait_dscnt 0x0
	s_barrier_signal -1
	s_barrier_wait -1
	global_inv scope:SCOPE_SE
	s_and_saveexec_b32 s0, vcc_lo
	s_cbranch_execz .LBB0_21
; %bb.19:
	ds_load_b128 v[4:7], v80
	ds_load_b128 v[8:11], v80 offset:208
	ds_load_b128 v[12:15], v80 offset:416
	;; [unrolled: 1-line block ×5, first 2 shown]
	v_add_co_u32 v2, vcc_lo, s8, v62
	s_wait_alu 0xfffd
	v_add_co_ci_u32_e32 v3, vcc_lo, s9, v63, vcc_lo
	s_delay_alu instid0(VALU_DEP_2) | instskip(SKIP_1) | instid1(VALU_DEP_2)
	v_add_co_u32 v0, vcc_lo, v2, v0
	s_wait_alu 0xfffd
	v_add_co_ci_u32_e32 v1, vcc_lo, v3, v1, vcc_lo
	v_cmp_eq_u32_e32 vcc_lo, 12, v60
	s_wait_dscnt 0x5
	global_store_b128 v[0:1], v[4:7], off
	s_wait_dscnt 0x4
	global_store_b128 v[0:1], v[8:11], off offset:208
	s_wait_dscnt 0x3
	global_store_b128 v[0:1], v[12:15], off offset:416
	;; [unrolled: 2-line block ×5, first 2 shown]
	s_and_b32 exec_lo, exec_lo, vcc_lo
	s_cbranch_execz .LBB0_21
; %bb.20:
	ds_load_b128 v[4:7], v80 offset:1056
	s_wait_dscnt 0x0
	global_store_b128 v[2:3], v[4:7], off offset:1248
.LBB0_21:
	s_nop 0
	s_sendmsg sendmsg(MSG_DEALLOC_VGPRS)
	s_endpgm
	.section	.rodata,"a",@progbits
	.p2align	6, 0x0
	.amdhsa_kernel fft_rtc_fwd_len78_factors_6_13_wgs_247_tpt_13_dp_ip_CI_unitstride_sbrr_R2C_dirReg
		.amdhsa_group_segment_fixed_size 0
		.amdhsa_private_segment_fixed_size 0
		.amdhsa_kernarg_size 88
		.amdhsa_user_sgpr_count 2
		.amdhsa_user_sgpr_dispatch_ptr 0
		.amdhsa_user_sgpr_queue_ptr 0
		.amdhsa_user_sgpr_kernarg_segment_ptr 1
		.amdhsa_user_sgpr_dispatch_id 0
		.amdhsa_user_sgpr_private_segment_size 0
		.amdhsa_wavefront_size32 1
		.amdhsa_uses_dynamic_stack 0
		.amdhsa_enable_private_segment 0
		.amdhsa_system_sgpr_workgroup_id_x 1
		.amdhsa_system_sgpr_workgroup_id_y 0
		.amdhsa_system_sgpr_workgroup_id_z 0
		.amdhsa_system_sgpr_workgroup_info 0
		.amdhsa_system_vgpr_workitem_id 0
		.amdhsa_next_free_vgpr 205
		.amdhsa_next_free_sgpr 42
		.amdhsa_reserve_vcc 1
		.amdhsa_float_round_mode_32 0
		.amdhsa_float_round_mode_16_64 0
		.amdhsa_float_denorm_mode_32 3
		.amdhsa_float_denorm_mode_16_64 3
		.amdhsa_fp16_overflow 0
		.amdhsa_workgroup_processor_mode 1
		.amdhsa_memory_ordered 1
		.amdhsa_forward_progress 0
		.amdhsa_round_robin_scheduling 0
		.amdhsa_exception_fp_ieee_invalid_op 0
		.amdhsa_exception_fp_denorm_src 0
		.amdhsa_exception_fp_ieee_div_zero 0
		.amdhsa_exception_fp_ieee_overflow 0
		.amdhsa_exception_fp_ieee_underflow 0
		.amdhsa_exception_fp_ieee_inexact 0
		.amdhsa_exception_int_div_zero 0
	.end_amdhsa_kernel
	.text
.Lfunc_end0:
	.size	fft_rtc_fwd_len78_factors_6_13_wgs_247_tpt_13_dp_ip_CI_unitstride_sbrr_R2C_dirReg, .Lfunc_end0-fft_rtc_fwd_len78_factors_6_13_wgs_247_tpt_13_dp_ip_CI_unitstride_sbrr_R2C_dirReg
                                        ; -- End function
	.section	.AMDGPU.csdata,"",@progbits
; Kernel info:
; codeLenInByte = 6956
; NumSgprs: 44
; NumVgprs: 205
; ScratchSize: 0
; MemoryBound: 0
; FloatMode: 240
; IeeeMode: 1
; LDSByteSize: 0 bytes/workgroup (compile time only)
; SGPRBlocks: 5
; VGPRBlocks: 25
; NumSGPRsForWavesPerEU: 44
; NumVGPRsForWavesPerEU: 205
; Occupancy: 7
; WaveLimiterHint : 1
; COMPUTE_PGM_RSRC2:SCRATCH_EN: 0
; COMPUTE_PGM_RSRC2:USER_SGPR: 2
; COMPUTE_PGM_RSRC2:TRAP_HANDLER: 0
; COMPUTE_PGM_RSRC2:TGID_X_EN: 1
; COMPUTE_PGM_RSRC2:TGID_Y_EN: 0
; COMPUTE_PGM_RSRC2:TGID_Z_EN: 0
; COMPUTE_PGM_RSRC2:TIDIG_COMP_CNT: 0
	.text
	.p2alignl 7, 3214868480
	.fill 96, 4, 3214868480
	.type	__hip_cuid_3c14af190b8b923e,@object ; @__hip_cuid_3c14af190b8b923e
	.section	.bss,"aw",@nobits
	.globl	__hip_cuid_3c14af190b8b923e
__hip_cuid_3c14af190b8b923e:
	.byte	0                               ; 0x0
	.size	__hip_cuid_3c14af190b8b923e, 1

	.ident	"AMD clang version 19.0.0git (https://github.com/RadeonOpenCompute/llvm-project roc-6.4.0 25133 c7fe45cf4b819c5991fe208aaa96edf142730f1d)"
	.section	".note.GNU-stack","",@progbits
	.addrsig
	.addrsig_sym __hip_cuid_3c14af190b8b923e
	.amdgpu_metadata
---
amdhsa.kernels:
  - .args:
      - .actual_access:  read_only
        .address_space:  global
        .offset:         0
        .size:           8
        .value_kind:     global_buffer
      - .offset:         8
        .size:           8
        .value_kind:     by_value
      - .actual_access:  read_only
        .address_space:  global
        .offset:         16
        .size:           8
        .value_kind:     global_buffer
      - .actual_access:  read_only
        .address_space:  global
        .offset:         24
        .size:           8
        .value_kind:     global_buffer
      - .offset:         32
        .size:           8
        .value_kind:     by_value
      - .actual_access:  read_only
        .address_space:  global
        .offset:         40
        .size:           8
        .value_kind:     global_buffer
      - .actual_access:  read_only
        .address_space:  global
        .offset:         48
        .size:           8
        .value_kind:     global_buffer
      - .offset:         56
        .size:           4
        .value_kind:     by_value
      - .actual_access:  read_only
        .address_space:  global
        .offset:         64
        .size:           8
        .value_kind:     global_buffer
      - .actual_access:  read_only
        .address_space:  global
        .offset:         72
        .size:           8
        .value_kind:     global_buffer
      - .address_space:  global
        .offset:         80
        .size:           8
        .value_kind:     global_buffer
    .group_segment_fixed_size: 0
    .kernarg_segment_align: 8
    .kernarg_segment_size: 88
    .language:       OpenCL C
    .language_version:
      - 2
      - 0
    .max_flat_workgroup_size: 247
    .name:           fft_rtc_fwd_len78_factors_6_13_wgs_247_tpt_13_dp_ip_CI_unitstride_sbrr_R2C_dirReg
    .private_segment_fixed_size: 0
    .sgpr_count:     44
    .sgpr_spill_count: 0
    .symbol:         fft_rtc_fwd_len78_factors_6_13_wgs_247_tpt_13_dp_ip_CI_unitstride_sbrr_R2C_dirReg.kd
    .uniform_work_group_size: 1
    .uses_dynamic_stack: false
    .vgpr_count:     205
    .vgpr_spill_count: 0
    .wavefront_size: 32
    .workgroup_processor_mode: 1
amdhsa.target:   amdgcn-amd-amdhsa--gfx1201
amdhsa.version:
  - 1
  - 2
...

	.end_amdgpu_metadata
